;; amdgpu-corpus repo=ROCm/rocFFT kind=compiled arch=gfx950 opt=O3
	.text
	.amdgcn_target "amdgcn-amd-amdhsa--gfx950"
	.amdhsa_code_object_version 6
	.protected	bluestein_single_fwd_len128_dim1_sp_op_CI_CI ; -- Begin function bluestein_single_fwd_len128_dim1_sp_op_CI_CI
	.globl	bluestein_single_fwd_len128_dim1_sp_op_CI_CI
	.p2align	8
	.type	bluestein_single_fwd_len128_dim1_sp_op_CI_CI,@function
bluestein_single_fwd_len128_dim1_sp_op_CI_CI: ; @bluestein_single_fwd_len128_dim1_sp_op_CI_CI
; %bb.0:
	s_load_dwordx4 s[8:11], s[0:1], 0x28
	v_lshrrev_b32_e32 v1, 4, v0
	v_lshl_or_b32 v44, s2, 4, v1
	v_mov_b32_e32 v45, 0
	s_waitcnt lgkmcnt(0)
	v_cmp_gt_u64_e32 vcc, s[8:9], v[44:45]
	s_and_saveexec_b64 s[2:3], vcc
	s_cbranch_execz .LBB0_15
; %bb.1:
	s_load_dwordx2 s[8:9], s[0:1], 0x0
	s_load_dwordx2 s[12:13], s[0:1], 0x38
	v_and_b32_e32 v50, 15, v0
	v_lshlrev_b32_e32 v37, 7, v1
	v_cmp_gt_u32_e32 vcc, 8, v50
	v_lshlrev_b32_e32 v51, 3, v50
	v_or_b32_e32 v36, v37, v50
	v_or_b32_e32 v54, 8, v50
	v_add_lshl_u32 v45, v37, v50, 3
	v_or_b32_e32 v55, 24, v50
	v_or_b32_e32 v53, 40, v50
	;; [unrolled: 1-line block ×3, first 2 shown]
	s_and_saveexec_b64 s[2:3], vcc
	s_cbranch_execz .LBB0_3
; %bb.2:
	s_load_dwordx2 s[4:5], s[0:1], 0x18
	v_mov_b32_e32 v0, s10
	v_mov_b32_e32 v1, s11
	v_or_b32_e32 v41, 0x48, v50
	v_or_b32_e32 v49, 0x58, v50
	s_waitcnt lgkmcnt(0)
	s_load_dwordx4 s[4:7], s[4:5], 0x0
	v_or_b32_e32 v67, 0x68, v50
	v_or_b32_e32 v73, 0x78, v50
	v_lshlrev_b32_e32 v78, 3, v36
	s_waitcnt lgkmcnt(0)
	v_mad_u64_u32 v[2:3], s[10:11], s6, v44, 0
	v_mad_u64_u32 v[4:5], s[10:11], s4, v50, 0
	v_mov_b32_e32 v6, v3
	v_mov_b32_e32 v8, v5
	v_mad_u64_u32 v[6:7], s[6:7], s7, v44, v[6:7]
	v_mov_b32_e32 v3, v6
	v_mad_u64_u32 v[6:7], s[6:7], s5, v50, v[8:9]
	v_mov_b32_e32 v5, v6
	v_lshl_add_u64 v[0:1], v[2:3], 3, v[0:1]
	v_lshl_add_u64 v[2:3], v[4:5], 3, v[0:1]
	v_mad_u64_u32 v[4:5], s[6:7], s4, v54, 0
	v_mov_b32_e32 v6, v5
	v_mad_u64_u32 v[8:9], s[10:11], s4, v55, 0
	v_mad_u64_u32 v[6:7], s[6:7], s5, v54, v[6:7]
	v_mov_b32_e32 v10, v9
	s_lshl_b64 s[6:7], s[4:5], 7
	v_mad_u64_u32 v[10:11], s[10:11], s5, v55, v[10:11]
	v_mad_u64_u32 v[28:29], s[10:11], s4, v53, 0
	v_mov_b32_e32 v5, v6
	v_lshl_add_u64 v[6:7], v[2:3], 0, s[6:7]
	v_mov_b32_e32 v9, v10
	v_mov_b32_e32 v34, v29
	v_lshl_add_u64 v[4:5], v[4:5], 3, v[0:1]
	v_lshl_add_u64 v[8:9], v[8:9], 3, v[0:1]
	global_load_dwordx2 v[10:11], v[2:3], off
	global_load_dwordx2 v[12:13], v[4:5], off
	;; [unrolled: 1-line block ×4, first 2 shown]
	global_load_dwordx2 v[18:19], v51, s[8:9]
	global_load_dwordx2 v[20:21], v51, s[8:9] offset:64
	global_load_dwordx2 v[22:23], v51, s[8:9] offset:128
	;; [unrolled: 1-line block ×3, first 2 shown]
	v_lshl_add_u64 v[2:3], v[6:7], 0, s[6:7]
	v_mad_u64_u32 v[30:31], s[10:11], s4, v52, 0
	v_mad_u64_u32 v[34:35], s[10:11], s5, v53, v[34:35]
	global_load_dwordx2 v[4:5], v51, s[8:9] offset:256
	global_load_dwordx2 v[6:7], v51, s[8:9] offset:320
	;; [unrolled: 1-line block ×4, first 2 shown]
	v_mad_u64_u32 v[32:33], s[10:11], s4, v41, 0
	v_mov_b32_e32 v38, v31
	v_mov_b32_e32 v29, v34
	global_load_dwordx2 v[34:35], v[2:3], off
	v_mov_b32_e32 v40, v33
	v_mad_u64_u32 v[38:39], s[10:11], s5, v52, v[38:39]
	v_mad_u64_u32 v[40:41], s[10:11], s5, v41, v[40:41]
	v_mov_b32_e32 v31, v38
	v_lshl_add_u64 v[28:29], v[28:29], 3, v[0:1]
	v_lshl_add_u64 v[2:3], v[2:3], 0, s[6:7]
	v_mad_u64_u32 v[46:47], s[10:11], s4, v49, 0
	v_mov_b32_e32 v33, v40
	v_lshl_add_u64 v[30:31], v[30:31], 3, v[0:1]
	global_load_dwordx2 v[38:39], v[28:29], off
	global_load_dwordx2 v[40:41], v[2:3], off
	;; [unrolled: 1-line block ×3, first 2 shown]
	v_lshl_add_u64 v[2:3], v[2:3], 0, s[6:7]
	v_mov_b32_e32 v48, v47
	v_mad_u64_u32 v[64:65], s[10:11], s4, v67, 0
	v_lshl_add_u64 v[32:33], v[32:33], 3, v[0:1]
	global_load_dwordx2 v[28:29], v[2:3], off
	global_load_dwordx2 v[30:31], v[32:33], off
	v_mad_u64_u32 v[48:49], s[10:11], s5, v49, v[48:49]
	global_load_dwordx2 v[56:57], v51, s[8:9] offset:512
	v_mov_b32_e32 v66, v65
	v_lshl_add_u64 v[2:3], v[2:3], 0, s[6:7]
	v_mov_b32_e32 v47, v48
	v_mad_u64_u32 v[66:67], s[10:11], s5, v67, v[66:67]
	global_load_dwordx2 v[32:33], v[2:3], off
	v_lshl_add_u64 v[46:47], v[46:47], 3, v[0:1]
	v_mov_b32_e32 v65, v66
	global_load_dwordx2 v[48:49], v[46:47], off
	global_load_dwordx2 v[58:59], v51, s[8:9] offset:576
	global_load_dwordx2 v[60:61], v51, s[8:9] offset:640
	;; [unrolled: 1-line block ×3, first 2 shown]
	v_lshl_add_u64 v[2:3], v[2:3], 0, s[6:7]
	v_lshl_add_u64 v[64:65], v[64:65], 3, v[0:1]
	global_load_dwordx2 v[46:47], v[2:3], off
	global_load_dwordx2 v[66:67], v[64:65], off
	global_load_dwordx2 v[68:69], v51, s[8:9] offset:768
	v_lshl_add_u64 v[2:3], v[2:3], 0, s[6:7]
	v_mad_u64_u32 v[70:71], s[6:7], s4, v73, 0
	v_mov_b32_e32 v72, v71
	global_load_dwordx2 v[2:3], v[2:3], off
	v_mad_u64_u32 v[72:73], s[4:5], s5, v73, v[72:73]
	global_load_dwordx2 v[64:65], v51, s[8:9] offset:832
	global_load_dwordx2 v[74:75], v51, s[8:9] offset:896
	v_mov_b32_e32 v71, v72
	v_lshl_add_u64 v[0:1], v[70:71], 3, v[0:1]
	global_load_dwordx2 v[70:71], v[0:1], off
	global_load_dwordx2 v[72:73], v51, s[8:9] offset:960
	s_waitcnt vmcnt(27)
	v_mul_f32_e32 v0, v11, v19
	v_mul_f32_e32 v1, v10, v19
	s_waitcnt vmcnt(26)
	v_mul_f32_e32 v76, v13, v21
	v_mul_f32_e32 v19, v12, v21
	v_fmac_f32_e32 v0, v10, v18
	v_fma_f32 v1, v11, v18, -v1
	v_fmac_f32_e32 v76, v12, v20
	v_fma_f32 v77, v13, v20, -v19
	s_waitcnt vmcnt(24)
	v_mul_f32_e32 v12, v17, v25
	v_mul_f32_e32 v13, v16, v25
	ds_write_b64 v78, v[0:1]
	v_fmac_f32_e32 v12, v16, v24
	v_fma_f32 v13, v17, v24, -v13
	v_mul_f32_e32 v10, v15, v23
	s_waitcnt vmcnt(19)
	v_mul_f32_e32 v0, v35, v5
	v_mul_f32_e32 v1, v34, v5
	v_fmac_f32_e32 v0, v34, v4
	v_fma_f32 v1, v35, v4, -v1
	ds_write2_b64 v45, v[12:13], v[0:1] offset0:24 offset1:32
	v_mul_f32_e32 v11, v14, v23
	v_fmac_f32_e32 v10, v14, v22
	v_fma_f32 v11, v15, v22, -v11
	ds_write2_b64 v45, v[76:77], v[10:11] offset0:8 offset1:16
	s_waitcnt vmcnt(18)
	v_mul_f32_e32 v0, v39, v7
	v_mul_f32_e32 v1, v38, v7
	s_waitcnt vmcnt(17)
	v_mul_f32_e32 v4, v41, v9
	v_mul_f32_e32 v5, v40, v9
	v_fmac_f32_e32 v0, v38, v6
	v_fma_f32 v1, v39, v6, -v1
	v_fmac_f32_e32 v4, v40, v8
	v_fma_f32 v5, v41, v8, -v5
	ds_write2_b64 v45, v[0:1], v[4:5] offset0:40 offset1:48
	s_waitcnt vmcnt(16)
	v_mul_f32_e32 v0, v43, v27
	v_mul_f32_e32 v1, v42, v27
	s_waitcnt vmcnt(13)
	v_mul_f32_e32 v4, v29, v57
	v_mul_f32_e32 v5, v28, v57
	v_fmac_f32_e32 v0, v42, v26
	v_fma_f32 v1, v43, v26, -v1
	v_fmac_f32_e32 v4, v28, v56
	v_fma_f32 v5, v29, v56, -v5
	ds_write2_b64 v45, v[0:1], v[4:5] offset0:56 offset1:64
	s_waitcnt vmcnt(10)
	v_mul_f32_e32 v0, v31, v59
	v_mul_f32_e32 v1, v30, v59
	s_waitcnt vmcnt(9)
	v_mul_f32_e32 v4, v33, v61
	v_mul_f32_e32 v5, v32, v61
	v_fmac_f32_e32 v0, v30, v58
	v_fma_f32 v1, v31, v58, -v1
	v_fmac_f32_e32 v4, v32, v60
	v_fma_f32 v5, v33, v60, -v5
	ds_write2_b64 v45, v[0:1], v[4:5] offset0:72 offset1:80
	s_waitcnt vmcnt(8)
	v_mul_f32_e32 v0, v49, v63
	v_mul_f32_e32 v1, v48, v63
	s_waitcnt vmcnt(5)
	v_mul_f32_e32 v4, v47, v69
	v_mul_f32_e32 v5, v46, v69
	v_fmac_f32_e32 v0, v48, v62
	v_fma_f32 v1, v49, v62, -v1
	v_fmac_f32_e32 v4, v46, v68
	v_fma_f32 v5, v47, v68, -v5
	ds_write2_b64 v45, v[0:1], v[4:5] offset0:88 offset1:96
	s_waitcnt vmcnt(2)
	v_mul_f32_e32 v4, v3, v75
	v_mul_f32_e32 v0, v67, v65
	;; [unrolled: 1-line block ×3, first 2 shown]
	v_fmac_f32_e32 v4, v2, v74
	v_mul_f32_e32 v2, v2, v75
	v_fmac_f32_e32 v0, v66, v64
	v_fma_f32 v1, v67, v64, -v1
	v_fma_f32 v5, v3, v74, -v2
	ds_write2_b64 v45, v[0:1], v[4:5] offset0:104 offset1:112
	s_waitcnt vmcnt(0)
	v_mul_f32_e32 v0, v71, v73
	v_mul_f32_e32 v1, v70, v73
	v_fmac_f32_e32 v0, v70, v72
	v_fma_f32 v1, v71, v72, -v1
	ds_write_b64 v45, v[0:1] offset:960
.LBB0_3:
	s_or_b64 exec, exec, s[2:3]
	s_load_dwordx2 s[2:3], s[0:1], 0x20
	s_load_dwordx2 s[4:5], s[0:1], 0x8
	s_waitcnt lgkmcnt(0)
	s_barrier
	s_waitcnt lgkmcnt(0)
                                        ; implicit-def: $vgpr4
                                        ; implicit-def: $vgpr16
                                        ; implicit-def: $vgpr0
                                        ; implicit-def: $vgpr20
                                        ; implicit-def: $vgpr8
                                        ; implicit-def: $vgpr24
                                        ; implicit-def: $vgpr28
                                        ; implicit-def: $vgpr14
	s_and_saveexec_b64 s[0:1], vcc
	s_cbranch_execz .LBB0_5
; %bb.4:
	v_lshlrev_b32_e32 v28, 3, v36
	ds_read2_b64 v[4:7], v28 offset1:8
	ds_read2_b64 v[0:3], v28 offset0:16 offset1:24
	ds_read2_b64 v[8:11], v28 offset0:32 offset1:40
	;; [unrolled: 1-line block ×7, first 2 shown]
.LBB0_5:
	s_or_b64 exec, exec, s[0:1]
	s_waitcnt lgkmcnt(2)
	v_pk_add_f32 v[20:21], v[0:1], v[20:21] neg_lo:[0,1] neg_hi:[0,1]
	v_pk_add_f32 v[16:17], v[4:5], v[16:17] neg_lo:[0,1] neg_hi:[0,1]
	v_fma_f32 v33, v0, 2.0, -v20
	v_fma_f32 v34, v1, 2.0, -v21
	s_waitcnt lgkmcnt(0)
	v_pk_add_f32 v[0:1], v[12:13], v[28:29] neg_lo:[0,1] neg_hi:[0,1]
	v_pk_add_f32 v[24:25], v[8:9], v[24:25] neg_lo:[0,1] neg_hi:[0,1]
	v_fma_f32 v12, v12, 2.0, -v0
	v_fma_f32 v28, v13, 2.0, -v1
	v_sub_f32_e32 v13, v33, v12
	v_sub_f32_e32 v32, v34, v28
	v_fma_f32 v38, v33, 2.0, -v13
	v_fma_f32 v41, v34, 2.0, -v32
	v_mov_b32_e32 v29, v24
	v_mov_b32_e32 v34, v25
	;; [unrolled: 1-line block ×6, first 2 shown]
	v_pk_add_f32 v[34:35], v[16:17], v[34:35] neg_lo:[0,1] neg_hi:[0,1]
	v_pk_add_f32 v[28:29], v[28:29], v[16:17]
	v_pk_add_f32 v[42:43], v[20:21], v[0:1] neg_lo:[0,1] neg_hi:[0,1]
	v_pk_add_f32 v[0:1], v[32:33], v[20:21]
	v_mov_b32_e32 v35, v29
	v_mov_b32_e32 v43, v1
	v_pk_fma_f32 v[4:5], v[4:5], 2.0, v[16:17] op_sel_hi:[1,0,1] neg_lo:[0,0,1] neg_hi:[0,0,1]
	v_pk_fma_f32 v[8:9], v[8:9], 2.0, v[24:25] op_sel_hi:[1,0,1] neg_lo:[0,0,1] neg_hi:[0,0,1]
	v_pk_fma_f32 v[28:29], v[16:17], 2.0, v[34:35] op_sel_hi:[1,0,1] neg_lo:[0,0,1] neg_hi:[0,0,1]
	v_pk_fma_f32 v[0:1], v[20:21], 2.0, v[42:43] op_sel_hi:[1,0,1] neg_lo:[0,0,1] neg_hi:[0,0,1]
	s_mov_b32 s6, 0x3f3504f3
	v_pk_add_f32 v[8:9], v[4:5], v[8:9] neg_lo:[0,1] neg_hi:[0,1]
	v_pk_mul_f32 v[20:21], v[0:1], s[6:7] op_sel_hi:[1,0]
	v_pk_fma_f32 v[46:47], v[0:1], s[6:7], v[28:29] op_sel_hi:[1,0,1] neg_lo:[1,0,0] neg_hi:[1,0,0]
	v_mov_b32_e32 v12, v8
	v_mov_b32_e32 v33, v9
	v_pk_add_f32 v[0:1], v[46:47], v[20:21] op_sel:[0,1] op_sel_hi:[1,0] neg_lo:[0,1] neg_hi:[0,1]
	v_pk_add_f32 v[20:21], v[46:47], v[20:21] op_sel:[0,1] op_sel_hi:[1,0]
	v_pk_fma_f32 v[16:17], v[4:5], 2.0, v[8:9] op_sel_hi:[1,0,1] neg_lo:[0,0,1] neg_hi:[0,0,1]
	v_pk_add_f32 v[4:5], v[8:9], v[32:33] neg_lo:[0,1] neg_hi:[0,1]
	v_pk_add_f32 v[24:25], v[12:13], v[8:9]
	v_mov_b32_e32 v1, v21
	v_mov_b32_e32 v5, v25
	v_pk_mul_f32 v[12:13], v[42:43], s[6:7] op_sel_hi:[1,0]
	v_pk_fma_f32 v[20:21], v[42:43], s[6:7], v[34:35] op_sel_hi:[1,0,1]
	v_pk_fma_f32 v[32:33], v[8:9], 2.0, v[4:5] op_sel_hi:[1,0,1] neg_lo:[0,0,1] neg_hi:[0,0,1]
	v_pk_add_f32 v[8:9], v[20:21], v[12:13] op_sel:[0,1] op_sel_hi:[1,0] neg_lo:[0,1] neg_hi:[0,1]
	v_pk_add_f32 v[12:13], v[20:21], v[12:13] op_sel:[0,1] op_sel_hi:[1,0]
	v_pk_add_f32 v[20:21], v[2:3], v[22:23] neg_lo:[0,1] neg_hi:[0,1]
	v_mov_b32_e32 v9, v13
	v_pk_add_f32 v[12:13], v[6:7], v[18:19] neg_lo:[0,1] neg_hi:[0,1]
	v_pk_add_f32 v[18:19], v[10:11], v[26:27] neg_lo:[0,1] neg_hi:[0,1]
	;; [unrolled: 1-line block ×3, first 2 shown]
	v_pk_add_f32 v[26:27], v[12:13], v[18:19] op_sel:[1,0] op_sel_hi:[0,1]
	v_pk_add_f32 v[30:31], v[12:13], v[18:19] op_sel:[1,0] op_sel_hi:[0,1] neg_lo:[0,1] neg_hi:[0,1]
	v_mov_b32_e32 v27, v31
	v_pk_add_f32 v[30:31], v[20:21], v[22:23] op_sel:[1,0] op_sel_hi:[0,1]
	v_pk_add_f32 v[42:43], v[20:21], v[22:23] op_sel:[1,0] op_sel_hi:[0,1] neg_lo:[0,1] neg_hi:[0,1]
	v_mov_b32_e32 v31, v43
	v_pk_fma_f32 v[42:43], v[12:13], 2.0, v[26:27] op_sel:[1,0,0] op_sel_hi:[0,0,1] neg_lo:[0,0,1] neg_hi:[0,0,1]
	v_pk_fma_f32 v[46:47], v[20:21], 2.0, v[30:31] op_sel:[1,0,0] op_sel_hi:[0,0,1] neg_lo:[0,0,1] neg_hi:[0,0,1]
	v_pk_mul_f32 v[48:49], v[46:47], s[6:7] op_sel_hi:[1,0]
	v_pk_fma_f32 v[46:47], v[46:47], s[6:7], v[42:43] op_sel_hi:[1,0,1] neg_lo:[1,0,0] neg_hi:[1,0,0]
	s_mov_b32 s0, 0x3f6c835e
	v_pk_add_f32 v[56:57], v[46:47], v[48:49] op_sel:[0,1] op_sel_hi:[1,0]
	v_pk_add_f32 v[46:47], v[46:47], v[48:49] op_sel:[0,1] op_sel_hi:[1,0] neg_lo:[0,1] neg_hi:[0,1]
	v_mov_b32_e32 v48, v2
	v_mov_b32_e32 v49, v6
	;; [unrolled: 1-line block ×12, first 2 shown]
	v_pk_fma_f32 v[10:11], v[48:49], 2.0, v[10:11] op_sel_hi:[1,0,1] neg_lo:[0,0,1] neg_hi:[0,0,1]
	v_pk_fma_f32 v[2:3], v[2:3], 2.0, v[20:21] op_sel_hi:[1,0,1] neg_lo:[0,0,1] neg_hi:[0,0,1]
	;; [unrolled: 1-line block ×4, first 2 shown]
	v_pk_add_f32 v[6:7], v[10:11], v[6:7] neg_lo:[0,1] neg_hi:[0,1]
	v_pk_add_f32 v[12:13], v[2:3], v[12:13] neg_lo:[0,1] neg_hi:[0,1]
	v_fma_f32 v39, v10, 2.0, -v6
	v_fma_f32 v40, v3, 2.0, -v13
	v_mov_b32_e32 v10, v11
	v_mov_b32_e32 v11, v2
	;; [unrolled: 1-line block ×4, first 2 shown]
	v_pk_fma_f32 v[10:11], v[10:11], 2.0, v[2:3] op_sel_hi:[1,0,1] neg_lo:[0,0,1] neg_hi:[0,0,1]
	v_pk_add_f32 v[48:49], v[6:7], v[12:13]
	v_pk_add_f32 v[2:3], v[6:7], v[12:13] neg_lo:[0,1] neg_hi:[0,1]
	v_mov_b32_e32 v46, v56
	v_mov_b32_e32 v49, v3
	v_fma_f32 v19, v7, 2.0, -v3
	v_pk_mul_f32 v[2:3], v[30:31], s[6:7] op_sel_hi:[1,0]
	v_pk_fma_f32 v[6:7], v[30:31], s[6:7], v[26:27] op_sel_hi:[1,0,1]
	v_fma_f32 v18, v12, 2.0, -v48
	v_pk_add_f32 v[30:31], v[6:7], v[2:3] op_sel:[0,1] op_sel_hi:[1,0]
	v_pk_add_f32 v[58:59], v[6:7], v[2:3] op_sel:[0,1] op_sel_hi:[1,0] neg_lo:[0,1] neg_hi:[0,1]
	v_mov_b32_e32 v2, v16
	v_mov_b32_e32 v3, v10
	v_pk_add_f32 v[38:39], v[2:3], v[38:39] neg_lo:[0,1] neg_hi:[0,1]
	v_mov_b32_e32 v2, v11
	v_mov_b32_e32 v3, v17
	v_pk_add_f32 v[40:41], v[2:3], v[40:41] neg_lo:[0,1] neg_hi:[0,1]
	v_pk_fma_f32 v[20:21], v[42:43], 2.0, v[46:47] op_sel_hi:[1,0,1] neg_lo:[0,0,1] neg_hi:[0,0,1]
	v_mov_b32_e32 v2, v38
	v_mov_b32_e32 v3, v41
	;; [unrolled: 1-line block ×4, first 2 shown]
	v_pk_fma_f32 v[28:29], v[28:29], 2.0, v[0:1] op_sel_hi:[1,0,1] neg_lo:[0,0,1] neg_hi:[0,0,1]
	v_pk_mul_f32 v[14:15], v[20:21], s[0:1] op_sel_hi:[1,0]
	v_pk_fma_f32 v[6:7], v[16:17], 2.0, v[2:3] op_sel_hi:[1,0,1] neg_lo:[0,0,1] neg_hi:[0,0,1]
	v_pk_fma_f32 v[10:11], v[10:11], 2.0, v[12:13] op_sel_hi:[1,0,1] neg_lo:[0,0,1] neg_hi:[0,0,1]
	s_mov_b32 s10, 0x3ec3ef15
	v_pk_add_f32 v[12:13], v[6:7], v[10:11] neg_lo:[0,1] neg_hi:[0,1]
	v_pk_add_f32 v[10:11], v[28:29], v[14:15] op_sel:[0,1] op_sel_hi:[1,0] neg_lo:[0,1] neg_hi:[0,1]
	v_mov_b32_e32 v58, v30
	v_pk_fma_f32 v[14:15], v[20:21], s[10:11], v[10:11] op_sel_hi:[1,0,1] neg_lo:[1,0,0] neg_hi:[1,0,0]
	v_pk_fma_f32 v[10:11], v[20:21], s[10:11], v[10:11] op_sel_hi:[1,0,1]
	v_pk_fma_f32 v[22:23], v[26:27], 2.0, v[58:59] op_sel_hi:[1,0,1] neg_lo:[0,0,1] neg_hi:[0,0,1]
	v_mov_b32_e32 v15, v11
	v_pk_fma_f32 v[10:11], v[18:19], s[6:7], v[32:33] op_sel:[0,0,1] op_sel_hi:[1,0,0] neg_lo:[1,0,0] neg_hi:[1,0,0]
	v_pk_fma_f32 v[34:35], v[34:35], 2.0, v[8:9] op_sel_hi:[1,0,1] neg_lo:[0,0,1] neg_hi:[0,0,1]
	v_pk_mul_f32 v[26:27], v[22:23], s[10:11] op_sel_hi:[1,0]
	v_pk_fma_f32 v[16:17], v[18:19], s[6:7], v[10:11] op_sel:[0,0,1] op_sel_hi:[1,0,0] neg_lo:[1,0,0] neg_hi:[1,0,0]
	v_pk_fma_f32 v[10:11], v[18:19], s[6:7], v[10:11] op_sel:[0,0,1] op_sel_hi:[1,0,0]
	v_pk_mul_f32 v[42:43], v[46:47], s[10:11] op_sel_hi:[1,0]
	v_mov_b32_e32 v17, v11
	v_pk_add_f32 v[10:11], v[34:35], v[26:27] op_sel:[0,1] op_sel_hi:[1,0] neg_lo:[0,1] neg_hi:[0,1]
	v_pk_add_f32 v[20:21], v[38:39], v[40:41] neg_lo:[0,1] neg_hi:[0,1]
	v_pk_fma_f32 v[18:19], v[22:23], s[0:1], v[10:11] op_sel_hi:[1,0,1] neg_lo:[1,0,0] neg_hi:[1,0,0]
	v_pk_fma_f32 v[10:11], v[22:23], s[0:1], v[10:11] op_sel_hi:[1,0,1]
	v_pk_mul_f32 v[60:61], v[58:59], s[0:1] op_sel_hi:[1,0]
	v_mov_b32_e32 v19, v11
	v_pk_add_f32 v[10:11], v[38:39], v[40:41]
	s_nop 0
	v_mov_b32_e32 v21, v11
	v_pk_add_f32 v[10:11], v[42:43], v[0:1] op_sel:[1,0] op_sel_hi:[0,1]
	v_pk_fma_f32 v[22:23], v[56:57], s[0:1], v[10:11] op_sel_hi:[1,0,1] neg_lo:[1,0,0] neg_hi:[1,0,0]
	v_pk_fma_f32 v[10:11], v[46:47], s[0:1], v[10:11] op_sel_hi:[1,0,1]
	v_lshlrev_b32_e32 v57, 3, v37
	v_mov_b32_e32 v23, v11
	v_mov_b32_e32 v10, v25
	;; [unrolled: 1-line block ×3, first 2 shown]
	v_pk_fma_f32 v[10:11], v[48:49], s[6:7], v[10:11] op_sel_hi:[1,0,1]
	s_barrier
	v_pk_fma_f32 v[24:25], v[48:49], s[6:7], v[10:11] op_sel:[0,0,1] op_sel_hi:[1,0,0] neg_lo:[1,0,0] neg_hi:[1,0,0]
	v_pk_fma_f32 v[10:11], v[48:49], s[6:7], v[10:11] op_sel:[0,0,1] op_sel_hi:[1,0,0]
	s_nop 0
	v_mov_b32_e32 v25, v11
	v_pk_add_f32 v[10:11], v[60:61], v[8:9] op_sel:[1,0] op_sel_hi:[0,1]
	v_pk_fma_f32 v[26:27], v[30:31], s[10:11], v[10:11] op_sel_hi:[1,0,1] neg_lo:[1,0,0] neg_hi:[1,0,0]
	v_pk_fma_f32 v[10:11], v[58:59], s[10:11], v[10:11] op_sel_hi:[1,0,1]
	s_nop 0
	v_mov_b32_e32 v27, v11
	s_and_saveexec_b64 s[0:1], vcc
	s_cbranch_execz .LBB0_7
; %bb.6:
	v_lshl_or_b32 v10, v50, 7, v57
	v_pk_fma_f32 v[40:41], v[28:29], 2.0, v[14:15] op_sel_hi:[1,0,1] neg_lo:[0,0,1] neg_hi:[0,0,1]
	v_pk_fma_f32 v[28:29], v[32:33], 2.0, v[16:17] op_sel_hi:[1,0,1] neg_lo:[0,0,1] neg_hi:[0,0,1]
	;; [unrolled: 1-line block ×4, first 2 shown]
	ds_write_b128 v10, v[28:31] offset:16
	v_pk_fma_f32 v[28:29], v[2:3], 2.0, v[20:21] op_sel_hi:[1,0,1] neg_lo:[0,0,1] neg_hi:[0,0,1]
	v_pk_fma_f32 v[30:31], v[0:1], 2.0, v[22:23] op_sel_hi:[1,0,1] neg_lo:[0,0,1] neg_hi:[0,0,1]
	v_pk_fma_f32 v[0:1], v[4:5], 2.0, v[24:25] op_sel_hi:[1,0,1] neg_lo:[0,0,1] neg_hi:[0,0,1]
	v_pk_fma_f32 v[2:3], v[8:9], 2.0, v[26:27] op_sel_hi:[1,0,1] neg_lo:[0,0,1] neg_hi:[0,0,1]
	ds_write_b128 v10, v[38:41]
	ds_write_b128 v10, v[28:31] offset:32
	ds_write_b128 v10, v[0:3] offset:48
	;; [unrolled: 1-line block ×6, first 2 shown]
.LBB0_7:
	s_or_b64 exec, exec, s[0:1]
	v_mad_u64_u32 v[28:29], s[4:5], v50, 56, s[4:5]
	s_load_dwordx4 s[0:3], s[2:3], 0x0
	s_waitcnt lgkmcnt(0)
	s_barrier
	global_load_dwordx4 v[8:11], v[28:29], off
	global_load_dwordx4 v[4:7], v[28:29], off offset:16
	global_load_dwordx4 v[0:3], v[28:29], off offset:32
	global_load_dwordx2 v[46:47], v[28:29], off offset:48
	v_lshlrev_b32_e32 v56, 3, v36
	ds_read2_b64 v[28:31], v56 offset1:16
	ds_read2_b64 v[32:35], v56 offset0:64 offset1:80
	ds_read2_b64 v[36:39], v56 offset0:32 offset1:48
	;; [unrolled: 1-line block ×3, first 2 shown]
	s_waitcnt lgkmcnt(3)
	v_mov_b32_e32 v48, v31
	s_waitcnt lgkmcnt(2)
	v_mov_b32_e32 v58, v35
	s_waitcnt vmcnt(3)
	v_pk_mul_f32 v[60:61], v[30:31], v[8:9]
	v_mov_b32_e32 v62, v9
	s_waitcnt vmcnt(1)
	v_pk_mul_f32 v[72:73], v[34:35], v[0:1]
	v_mov_b32_e32 v64, v11
	s_waitcnt lgkmcnt(1)
	v_pk_mul_f32 v[66:67], v[36:37], v[10:11] op_sel:[1,0] op_sel_hi:[0,1]
	v_mov_b32_e32 v68, v5
	v_pk_mul_f32 v[70:71], v[38:39], v[4:5] op_sel:[1,0] op_sel_hi:[0,1]
	v_mov_b32_e32 v72, v1
	v_mov_b32_e32 v74, v3
	s_waitcnt lgkmcnt(0)
	v_pk_mul_f32 v[76:77], v[40:41], v[2:3] op_sel:[1,0] op_sel_hi:[0,1]
	s_waitcnt vmcnt(0)
	v_mov_b32_e32 v78, v47
	v_pk_mul_f32 v[80:81], v[42:43], v[46:47] op_sel:[1,0] op_sel_hi:[0,1]
	v_mov_b32_e32 v82, v7
	v_mov_b32_e32 v84, v66
	;; [unrolled: 1-line block ×7, first 2 shown]
	v_pk_mul_f32 v[30:31], v[30:31], v[62:63]
	v_pk_mul_f32 v[60:61], v[36:37], v[64:65] op_sel:[1,0] op_sel_hi:[0,1]
	v_pk_mul_f32 v[62:63], v[38:39], v[68:69] op_sel:[1,0] op_sel_hi:[0,1]
	v_mov_b32_e32 v64, v73
	v_pk_mul_f32 v[68:69], v[34:35], v[72:73]
	v_pk_mul_f32 v[72:73], v[40:41], v[74:75] op_sel:[1,0] op_sel_hi:[0,1]
	v_pk_mul_f32 v[74:75], v[42:43], v[78:79] op_sel:[1,0] op_sel_hi:[0,1]
	v_mov_b32_e32 v49, v80
	v_pk_mul_f32 v[78:79], v[32:33], v[82:83] op_sel_hi:[1,0]
	v_pk_fma_f32 v[30:31], v[48:49], v[8:9], v[30:31]
	v_pk_fma_f32 v[36:37], v[36:37], v[10:11], v[60:61] neg_lo:[0,0,1] neg_hi:[0,0,1]
	v_pk_fma_f32 v[38:39], v[38:39], v[4:5], v[62:63] neg_lo:[0,0,1] neg_hi:[0,0,1]
	v_pk_fma_f32 v[34:35], v[34:35], v[0:1], v[64:65] neg_lo:[0,0,1] neg_hi:[0,0,1]
	v_pk_add_f32 v[60:61], v[84:85], v[76:77]
	v_pk_fma_f32 v[62:63], v[42:43], v[46:47], v[74:75] neg_lo:[0,0,1] neg_hi:[0,0,1]
	v_pk_fma_f32 v[42:43], v[42:43], v[46:47], v[48:49] op_sel:[1,0,0] op_sel_hi:[0,1,1]
	v_pk_add_f32 v[48:49], v[66:67], v[70:71] neg_lo:[0,1] neg_hi:[0,1]
	v_pk_add_f32 v[64:65], v[66:67], v[70:71]
	v_pk_fma_f32 v[66:67], v[32:33], v[6:7], v[78:79] op_sel:[0,0,1] op_sel_hi:[1,1,0] neg_lo:[0,0,1] neg_hi:[0,0,1]
	v_pk_fma_f32 v[32:33], v[32:33], v[6:7], v[78:79] op_sel:[0,0,1] op_sel_hi:[1,0,0]
	v_mov_b32_e32 v49, v65
	v_mov_b32_e32 v32, v61
	;; [unrolled: 1-line block ×4, first 2 shown]
	v_pk_fma_f32 v[58:59], v[58:59], v[0:1], v[68:69]
	v_pk_fma_f32 v[40:41], v[40:41], v[2:3], v[72:73] neg_lo:[0,0,1] neg_hi:[0,0,1]
	v_pk_add_f32 v[32:33], v[60:61], v[32:33] neg_lo:[0,1] neg_hi:[0,1]
	v_pk_add_f32 v[34:35], v[48:49], v[34:35] neg_lo:[0,1] neg_hi:[0,1]
	;; [unrolled: 1-line block ×6, first 2 shown]
	v_fma_f32 v37, v60, 2.0, -v32
	v_fma_f32 v31, v48, 2.0, -v34
	v_mov_b32_e32 v48, v35
	v_pk_add_f32 v[60:61], v[42:43], v[32:33] neg_lo:[0,1] neg_hi:[0,1]
	v_mov_b32_e32 v32, v43
	v_fma_f32 v30, v30, 2.0, -v58
	v_fma_f32 v39, v38, 2.0, -v62
	v_pk_add_f32 v[62:63], v[58:59], v[62:63]
	v_fma_f32 v38, v65, 2.0, -v35
	v_pk_add_f32 v[48:49], v[34:35], v[48:49] neg_lo:[0,1] neg_hi:[0,1]
	v_pk_add_f32 v[64:65], v[32:33], v[40:41]
	v_fma_f32 v36, v36, 2.0, -v40
	v_fma_f32 v58, v58, 2.0, -v62
	;; [unrolled: 1-line block ×3, first 2 shown]
	v_pk_add_f32 v[38:39], v[30:31], v[38:39] neg_lo:[0,1] neg_hi:[0,1]
	v_fma_f32 v59, v34, 2.0, -v48
	v_fma_f32 v40, v43, 2.0, -v64
	;; [unrolled: 1-line block ×4, first 2 shown]
	v_pk_fma_f32 v[30:31], v[58:59], s[6:7], v[40:41] op_sel_hi:[1,0,1] neg_lo:[1,0,0] neg_hi:[1,0,0]
	v_pk_fma_f32 v[28:29], v[28:29], 2.0, v[42:43] op_sel_hi:[1,0,1] neg_lo:[0,0,1] neg_hi:[0,0,1]
	v_pk_fma_f32 v[34:35], v[58:59], s[6:7], v[30:31] op_sel:[0,0,1] op_sel_hi:[1,0,0] neg_lo:[1,0,0] neg_hi:[1,0,0]
	v_pk_fma_f32 v[30:31], v[58:59], s[6:7], v[30:31] op_sel:[0,0,1] op_sel_hi:[1,0,0]
	v_pk_add_f32 v[36:37], v[28:29], v[36:37] neg_lo:[0,1] neg_hi:[0,1]
	v_mov_b32_e32 v35, v31
	v_mov_b32_e32 v30, v31
	;; [unrolled: 1-line block ×3, first 2 shown]
	v_pk_fma_f32 v[40:41], v[40:41], 2.0, v[30:31] op_sel_hi:[1,0,1] neg_lo:[0,0,1] neg_hi:[0,0,1]
	v_mov_b32_e32 v63, v48
	v_mov_b32_e32 v30, v41
	;; [unrolled: 1-line block ×3, first 2 shown]
	v_pk_add_f32 v[40:41], v[36:37], v[38:39] neg_lo:[0,1] neg_hi:[0,1]
	v_pk_add_f32 v[38:39], v[36:37], v[38:39]
	v_mov_b32_e32 v65, v60
	v_mov_b32_e32 v41, v39
	v_pk_fma_f32 v[38:39], v[62:63], s[6:7], v[64:65] op_sel_hi:[1,0,1]
	v_pk_fma_f32 v[28:29], v[28:29], 2.0, v[36:37] op_sel_hi:[1,0,1] neg_lo:[0,0,1] neg_hi:[0,0,1]
	v_pk_fma_f32 v[42:43], v[62:63], s[6:7], v[38:39] op_sel:[0,0,1] op_sel_hi:[1,0,0] neg_lo:[1,0,0] neg_hi:[1,0,0]
	v_pk_fma_f32 v[38:39], v[62:63], s[6:7], v[38:39] op_sel:[0,0,1] op_sel_hi:[1,0,0]
	v_pk_add_f32 v[32:33], v[28:29], v[32:33] neg_lo:[0,1] neg_hi:[0,1]
	v_mov_b32_e32 v43, v39
	v_pk_add_f32 v[38:39], v[64:65], v[64:65]
	v_pk_fma_f32 v[28:29], v[28:29], 2.0, v[32:33] op_sel_hi:[1,0,1] neg_lo:[0,0,1] neg_hi:[0,0,1]
	v_pk_fma_f32 v[36:37], v[36:37], 2.0, v[40:41] op_sel_hi:[1,0,1] neg_lo:[0,0,1] neg_hi:[0,0,1]
	v_pk_add_f32 v[38:39], v[38:39], v[42:43] op_sel:[1,0] op_sel_hi:[0,1] neg_lo:[0,1] neg_hi:[0,1]
	ds_write2_b64 v56, v[28:29], v[30:31] offset1:16
	ds_write2_b64 v56, v[36:37], v[38:39] offset0:32 offset1:48
	ds_write2_b64 v56, v[32:33], v[34:35] offset0:64 offset1:80
	;; [unrolled: 1-line block ×3, first 2 shown]
	s_waitcnt lgkmcnt(0)
	s_barrier
	s_and_saveexec_b64 s[4:5], vcc
	s_cbranch_execz .LBB0_9
; %bb.8:
	global_load_dwordx2 v[48:49], v51, s[8:9] offset:1024
	s_add_u32 s6, s8, 0x400
	s_addc_u32 s7, s9, 0
	global_load_dwordx2 v[86:87], v51, s[6:7] offset:64
	global_load_dwordx2 v[88:89], v51, s[6:7] offset:128
	;; [unrolled: 1-line block ×15, first 2 shown]
	ds_read_b64 v[58:59], v56
	s_waitcnt vmcnt(15) lgkmcnt(0)
	v_mul_f32_e32 v60, v59, v49
	v_mul_f32_e32 v61, v58, v49
	v_fma_f32 v60, v58, v48, -v60
	v_fmac_f32_e32 v61, v59, v48
	ds_write_b64 v56, v[60:61]
	ds_read2_b64 v[58:61], v45 offset0:8 offset1:16
	ds_read2_b64 v[62:65], v45 offset0:24 offset1:32
	;; [unrolled: 1-line block ×7, first 2 shown]
	ds_read_b64 v[48:49], v45 offset:960
	s_waitcnt vmcnt(14) lgkmcnt(7)
	v_mul_f32_e32 v117, v58, v87
	v_mul_f32_e32 v116, v59, v87
	s_waitcnt vmcnt(13)
	v_mul_f32_e32 v118, v61, v89
	v_mul_f32_e32 v87, v60, v89
	s_waitcnt vmcnt(12) lgkmcnt(6)
	v_mul_f32_e32 v119, v63, v91
	v_mul_f32_e32 v89, v62, v91
	v_fmac_f32_e32 v117, v59, v86
	s_waitcnt vmcnt(7) lgkmcnt(4)
	v_mul_f32_e32 v59, v72, v101
	v_mul_f32_e32 v120, v65, v93
	v_mul_f32_e32 v91, v64, v93
	v_mul_f32_e32 v121, v67, v95
	v_mul_f32_e32 v93, v66, v95
	v_mul_f32_e32 v122, v69, v97
	v_mul_f32_e32 v95, v68, v97
	v_mul_f32_e32 v123, v71, v99
	v_mul_f32_e32 v97, v70, v99
	v_mul_f32_e32 v124, v73, v101
	v_fma_f32 v116, v58, v86, -v116
	s_waitcnt vmcnt(6) lgkmcnt(3)
	v_mul_f32_e32 v125, v75, v103
	v_fma_f32 v86, v60, v88, -v118
	v_fmac_f32_e32 v87, v61, v88
	v_mul_f32_e32 v61, v74, v103
	s_waitcnt vmcnt(5)
	v_mul_f32_e32 v103, v77, v105
	v_mul_f32_e32 v99, v76, v105
	s_waitcnt vmcnt(4) lgkmcnt(2)
	v_mul_f32_e32 v105, v79, v107
	v_fma_f32 v88, v62, v90, -v119
	v_mul_f32_e32 v101, v78, v107
	v_fmac_f32_e32 v89, v63, v90
	s_waitcnt vmcnt(3)
	v_mul_f32_e32 v62, v81, v109
	v_mul_f32_e32 v63, v80, v109
	v_fmac_f32_e32 v59, v73, v100
	v_fma_f32 v90, v64, v92, -v120
	v_fmac_f32_e32 v91, v65, v92
	s_waitcnt vmcnt(2) lgkmcnt(1)
	v_mul_f32_e32 v64, v83, v111
	v_mul_f32_e32 v65, v82, v111
	s_waitcnt vmcnt(1)
	v_mul_f32_e32 v107, v85, v113
	v_fma_f32 v92, v66, v94, -v121
	v_fmac_f32_e32 v93, v67, v94
	v_fma_f32 v94, v68, v96, -v122
	v_fmac_f32_e32 v95, v69, v96
	;; [unrolled: 2-line block ×3, first 2 shown]
	v_fma_f32 v58, v72, v100, -v124
	v_fma_f32 v60, v74, v102, -v125
	v_fmac_f32_e32 v61, v75, v102
	v_fma_f32 v98, v76, v104, -v103
	v_fmac_f32_e32 v99, v77, v104
	;; [unrolled: 2-line block ×4, first 2 shown]
	ds_write2_b64 v45, v[116:117], v[86:87] offset0:8 offset1:16
	ds_write2_b64 v45, v[88:89], v[90:91] offset0:24 offset1:32
	;; [unrolled: 1-line block ×6, first 2 shown]
	v_mul_f32_e32 v59, v84, v113
	v_fma_f32 v64, v82, v110, -v64
	v_fmac_f32_e32 v65, v83, v110
	v_fma_f32 v58, v84, v112, -v107
	v_fmac_f32_e32 v59, v85, v112
	ds_write2_b64 v45, v[64:65], v[58:59] offset0:104 offset1:112
	s_waitcnt vmcnt(0) lgkmcnt(7)
	v_mul_f32_e32 v58, v49, v115
	v_mul_f32_e32 v59, v48, v115
	v_fma_f32 v58, v48, v114, -v58
	v_fmac_f32_e32 v59, v49, v114
	ds_write_b64 v45, v[58:59] offset:960
.LBB0_9:
	s_or_b64 exec, exec, s[4:5]
	s_waitcnt lgkmcnt(0)
	s_barrier
	s_and_saveexec_b64 s[4:5], vcc
	s_cbranch_execz .LBB0_11
; %bb.10:
	ds_read2_b64 v[28:31], v56 offset1:8
	ds_read2_b64 v[36:39], v56 offset0:16 offset1:24
	ds_read2_b64 v[32:35], v56 offset0:32 offset1:40
	;; [unrolled: 1-line block ×7, first 2 shown]
.LBB0_11:
	s_or_b64 exec, exec, s[4:5]
	v_mov_b32_e32 v48, v6
	v_mov_b32_e32 v49, v6
	;; [unrolled: 1-line block ×3, first 2 shown]
	s_waitcnt lgkmcnt(0)
	s_barrier
	s_and_saveexec_b64 s[4:5], vcc
	s_cbranch_execz .LBB0_13
; %bb.12:
	v_pk_add_f32 v[58:59], v[36:37], v[16:17] neg_lo:[0,1] neg_hi:[0,1]
	v_pk_add_f32 v[24:25], v[40:41], v[24:25] neg_lo:[0,1] neg_hi:[0,1]
	;; [unrolled: 1-line block ×4, first 2 shown]
	v_pk_fma_f32 v[12:13], v[36:37], 2.0, v[58:59] op_sel_hi:[1,0,1] neg_lo:[0,0,1] neg_hi:[0,0,1]
	v_pk_fma_f32 v[16:17], v[40:41], 2.0, v[24:25] op_sel_hi:[1,0,1] neg_lo:[0,0,1] neg_hi:[0,0,1]
	v_pk_add_f32 v[18:19], v[38:39], v[18:19] neg_lo:[0,1] neg_hi:[0,1]
	v_pk_add_f32 v[26:27], v[42:43], v[26:27] neg_lo:[0,1] neg_hi:[0,1]
	;; [unrolled: 1-line block ×3, first 2 shown]
	v_pk_fma_f32 v[16:17], v[28:29], 2.0, v[60:61] op_sel_hi:[1,0,1] neg_lo:[0,0,1] neg_hi:[0,0,1]
	v_pk_fma_f32 v[28:29], v[32:33], 2.0, v[20:21] op_sel_hi:[1,0,1] neg_lo:[0,0,1] neg_hi:[0,0,1]
	v_pk_add_f32 v[62:63], v[60:61], v[20:21] op_sel:[0,1] op_sel_hi:[1,0]
	v_pk_add_f32 v[20:21], v[60:61], v[20:21] op_sel:[0,1] op_sel_hi:[1,0] neg_lo:[0,1] neg_hi:[0,1]
	v_pk_add_f32 v[14:15], v[30:31], v[14:15] neg_lo:[0,1] neg_hi:[0,1]
	v_pk_add_f32 v[22:23], v[34:35], v[22:23] neg_lo:[0,1] neg_hi:[0,1]
	;; [unrolled: 1-line block ×3, first 2 shown]
	v_pk_fma_f32 v[28:29], v[38:39], 2.0, v[18:19] op_sel_hi:[1,0,1] neg_lo:[0,0,1] neg_hi:[0,0,1]
	v_pk_fma_f32 v[38:39], v[42:43], 2.0, v[26:27] op_sel_hi:[1,0,1] neg_lo:[0,0,1] neg_hi:[0,0,1]
	v_pk_add_f32 v[42:43], v[58:59], v[24:25] op_sel:[0,1] op_sel_hi:[1,0]
	v_pk_add_f32 v[24:25], v[58:59], v[24:25] op_sel:[0,1] op_sel_hi:[1,0] neg_lo:[0,1] neg_hi:[0,1]
	v_mov_b32_e32 v63, v21
	v_pk_add_f32 v[64:65], v[18:19], v[26:27] op_sel:[0,1] op_sel_hi:[1,0]
	v_pk_add_f32 v[20:21], v[18:19], v[26:27] op_sel:[0,1] op_sel_hi:[1,0] neg_lo:[0,1] neg_hi:[0,1]
	v_mov_b32_e32 v43, v25
	v_mov_b32_e32 v65, v21
	v_pk_add_f32 v[26:27], v[14:15], v[22:23] op_sel:[0,1] op_sel_hi:[1,0]
	v_pk_add_f32 v[20:21], v[14:15], v[22:23] op_sel:[0,1] op_sel_hi:[1,0] neg_lo:[0,1] neg_hi:[0,1]
	v_pk_fma_f32 v[30:31], v[30:31], 2.0, v[14:15] op_sel_hi:[1,0,1] neg_lo:[0,0,1] neg_hi:[0,0,1]
	v_pk_fma_f32 v[34:35], v[34:35], 2.0, v[22:23] op_sel_hi:[1,0,1] neg_lo:[0,0,1] neg_hi:[0,0,1]
	v_mov_b32_e32 v27, v21
	v_pk_fma_f32 v[20:21], v[58:59], 2.0, v[42:43] op_sel_hi:[1,0,1] neg_lo:[0,0,1] neg_hi:[0,0,1]
	s_mov_b32 s6, 0x3f3504f3
	v_pk_fma_f32 v[58:59], v[60:61], 2.0, v[62:63] op_sel_hi:[1,0,1] neg_lo:[0,0,1] neg_hi:[0,0,1]
	v_pk_add_f32 v[38:39], v[28:29], v[38:39] neg_lo:[0,1] neg_hi:[0,1]
	v_pk_add_f32 v[34:35], v[30:31], v[34:35] neg_lo:[0,1] neg_hi:[0,1]
	v_pk_fma_f32 v[16:17], v[16:17], 2.0, v[32:33] op_sel_hi:[1,0,1] neg_lo:[0,0,1] neg_hi:[0,0,1]
	v_pk_fma_f32 v[12:13], v[12:13], 2.0, v[36:37] op_sel_hi:[1,0,1] neg_lo:[0,0,1] neg_hi:[0,0,1]
	v_pk_mul_f32 v[22:23], v[20:21], s[6:7] op_sel_hi:[1,0]
	v_pk_fma_f32 v[20:21], v[20:21], s[6:7], v[58:59] op_sel_hi:[1,0,1] neg_lo:[1,0,0] neg_hi:[1,0,0]
	v_pk_fma_f32 v[18:19], v[18:19], 2.0, v[64:65] op_sel_hi:[1,0,1] neg_lo:[0,0,1] neg_hi:[0,0,1]
	v_pk_fma_f32 v[14:15], v[14:15], 2.0, v[26:27] op_sel_hi:[1,0,1] neg_lo:[0,0,1] neg_hi:[0,0,1]
	v_pk_add_f32 v[40:41], v[16:17], v[12:13] neg_lo:[0,1] neg_hi:[0,1]
	v_pk_fma_f32 v[12:13], v[30:31], 2.0, v[34:35] op_sel_hi:[1,0,1] neg_lo:[0,0,1] neg_hi:[0,0,1]
	v_pk_fma_f32 v[28:29], v[28:29], 2.0, v[38:39] op_sel_hi:[1,0,1] neg_lo:[0,0,1] neg_hi:[0,0,1]
	v_pk_add_f32 v[60:61], v[20:21], v[22:23] op_sel:[0,1] op_sel_hi:[1,0]
	v_pk_add_f32 v[24:25], v[20:21], v[22:23] op_sel:[0,1] op_sel_hi:[1,0] neg_lo:[0,1] neg_hi:[0,1]
	v_pk_mul_f32 v[20:21], v[18:19], s[6:7] op_sel_hi:[1,0]
	v_pk_fma_f32 v[18:19], v[18:19], s[6:7], v[14:15] op_sel_hi:[1,0,1] neg_lo:[1,0,0] neg_hi:[1,0,0]
	v_pk_add_f32 v[30:31], v[12:13], v[28:29] neg_lo:[0,1] neg_hi:[0,1]
	v_pk_add_f32 v[66:67], v[18:19], v[20:21] op_sel:[0,1] op_sel_hi:[1,0]
	v_pk_add_f32 v[28:29], v[18:19], v[20:21] op_sel:[0,1] op_sel_hi:[1,0] neg_lo:[0,1] neg_hi:[0,1]
	v_mov_b32_e32 v61, v25
	v_mov_b32_e32 v67, v29
	s_mov_b32 s14, 0x3ec3ef15
	s_mov_b32 s10, 0x3f6c835e
	v_pk_fma_f32 v[14:15], v[14:15], 2.0, v[66:67] op_sel_hi:[1,0,1] neg_lo:[0,0,1] neg_hi:[0,0,1]
	v_pk_fma_f32 v[18:19], v[58:59], 2.0, v[60:61] op_sel_hi:[1,0,1] neg_lo:[0,0,1] neg_hi:[0,0,1]
	v_fmamk_f32 v24, v66, 0x3ec3ef15, v60
	v_pk_mul_f32 v[20:21], v[14:15], s[14:15] op_sel_hi:[1,0]
	v_pk_fma_f32 v[22:23], v[14:15], s[10:11], v[18:19] op_sel_hi:[1,0,1] neg_lo:[1,0,0] neg_hi:[1,0,0]
	v_pk_fma_f32 v[16:17], v[16:17], 2.0, v[40:41] op_sel_hi:[1,0,1] neg_lo:[0,0,1] neg_hi:[0,0,1]
	v_pk_fma_f32 v[12:13], v[12:13], 2.0, v[30:31] op_sel_hi:[1,0,1] neg_lo:[0,0,1] neg_hi:[0,0,1]
	v_fmac_f32_e32 v24, 0x3f6c835e, v29
	v_pk_add_f32 v[14:15], v[22:23], v[20:21] op_sel:[0,1] op_sel_hi:[1,0]
	v_pk_add_f32 v[58:59], v[22:23], v[20:21] op_sel:[0,1] op_sel_hi:[1,0] neg_lo:[0,1] neg_hi:[0,1]
	v_pk_add_f32 v[12:13], v[16:17], v[12:13] neg_lo:[0,1] neg_hi:[0,1]
	v_fma_f32 v28, v60, 2.0, -v24
	v_mov_b32_e32 v15, v59
	v_pk_add_f32 v[60:61], v[32:33], v[36:37] op_sel:[0,1] op_sel_hi:[1,0]
	v_pk_add_f32 v[36:37], v[32:33], v[36:37] op_sel:[0,1] op_sel_hi:[1,0] neg_lo:[0,1] neg_hi:[0,1]
	v_pk_add_f32 v[68:69], v[34:35], v[38:39] op_sel:[0,1] op_sel_hi:[1,0]
	v_pk_add_f32 v[38:39], v[34:35], v[38:39] op_sel:[0,1] op_sel_hi:[1,0] neg_lo:[0,1] neg_hi:[0,1]
	v_lshl_or_b32 v57, v50, 7, v57
	v_pk_fma_f32 v[16:17], v[16:17], 2.0, v[12:13] op_sel_hi:[1,0,1] neg_lo:[0,0,1] neg_hi:[0,0,1]
	v_pk_fma_f32 v[18:19], v[18:19], 2.0, v[14:15] op_sel_hi:[1,0,1] neg_lo:[0,0,1] neg_hi:[0,0,1]
	v_mov_b32_e32 v61, v37
	v_mov_b32_e32 v69, v39
	ds_write_b128 v57, v[16:19]
	v_pk_fma_f32 v[16:17], v[34:35], 2.0, v[68:69] op_sel_hi:[1,0,1] neg_lo:[0,0,1] neg_hi:[0,0,1]
	v_pk_fma_f32 v[20:21], v[32:33], 2.0, v[60:61] op_sel_hi:[1,0,1] neg_lo:[0,0,1] neg_hi:[0,0,1]
	v_pk_mul_f32 v[18:19], v[16:17], s[6:7] op_sel_hi:[1,0]
	v_pk_fma_f32 v[22:23], v[16:17], s[6:7], v[20:21] op_sel_hi:[1,0,1] neg_lo:[1,0,0] neg_hi:[1,0,0]
	v_mov_b32_e32 v67, v39
	v_pk_add_f32 v[16:17], v[22:23], v[18:19] op_sel:[0,1] op_sel_hi:[1,0]
	v_pk_add_f32 v[32:33], v[22:23], v[18:19] op_sel:[0,1] op_sel_hi:[1,0] neg_lo:[0,1] neg_hi:[0,1]
	v_pk_mul_f32 v[18:19], v[42:43], s[6:7] op_sel_hi:[1,0]
	v_pk_fma_f32 v[22:23], v[42:43], s[6:7], v[62:63] op_sel_hi:[1,0,1]
	v_pk_fma_f32 v[42:43], v[64:65], s[6:7], v[26:27] op_sel_hi:[1,0,1]
	v_pk_add_f32 v[34:35], v[22:23], v[18:19] op_sel:[0,1] op_sel_hi:[1,0]
	v_pk_add_f32 v[18:19], v[22:23], v[18:19] op_sel:[0,1] op_sel_hi:[1,0] neg_lo:[0,1] neg_hi:[0,1]
	v_pk_mul_f32 v[22:23], v[64:65], s[6:7] op_sel_hi:[1,0]
	v_mov_b32_e32 v35, v19
	v_pk_add_f32 v[64:65], v[42:43], v[22:23] op_sel:[0,1] op_sel_hi:[1,0]
	v_pk_add_f32 v[22:23], v[42:43], v[22:23] op_sel:[0,1] op_sel_hi:[1,0] neg_lo:[0,1] neg_hi:[0,1]
	v_fmamk_f32 v43, v64, 0x3f6c835e, v34
	v_fmamk_f32 v15, v23, 0x3f6c835e, v19
	v_mov_b32_e32 v65, v23
	v_fmamk_f32 v32, v64, 0xbec3ef15, v15
	v_fma_f32 v36, v19, 2.0, -v32
	v_fmac_f32_e32 v43, 0x3ec3ef15, v23
	v_pk_fma_f32 v[18:19], v[26:27], 2.0, v[64:65] op_sel_hi:[1,0,1] neg_lo:[0,0,1] neg_hi:[0,0,1]
	v_pk_fma_f32 v[22:23], v[62:63], 2.0, v[34:35] op_sel_hi:[1,0,1] neg_lo:[0,0,1] neg_hi:[0,0,1]
	v_pk_mul_f32 v[26:27], v[18:19], s[10:11] op_sel_hi:[1,0]
	v_pk_fma_f32 v[62:63], v[18:19], s[14:15], v[22:23] op_sel_hi:[1,0,1] neg_lo:[1,0,0] neg_hi:[1,0,0]
	v_mov_b32_e32 v17, v33
	v_pk_add_f32 v[18:19], v[62:63], v[26:27] op_sel:[0,1] op_sel_hi:[1,0]
	v_pk_add_f32 v[62:63], v[62:63], v[26:27] op_sel:[0,1] op_sel_hi:[1,0] neg_lo:[0,1] neg_hi:[0,1]
	v_pk_fma_f32 v[20:21], v[20:21], 2.0, v[16:17] op_sel_hi:[1,0,1] neg_lo:[0,0,1] neg_hi:[0,0,1]
	v_mov_b32_e32 v19, v63
	v_pk_fma_f32 v[22:23], v[22:23], 2.0, v[18:19] op_sel_hi:[1,0,1] neg_lo:[0,0,1] neg_hi:[0,0,1]
	ds_write_b128 v57, v[20:23] offset:16
	v_pk_add_f32 v[22:23], v[40:41], v[30:31] op_sel:[0,1] op_sel_hi:[1,0]
	v_pk_add_f32 v[20:21], v[40:41], v[30:31] op_sel:[0,1] op_sel_hi:[1,0] neg_lo:[0,1] neg_hi:[0,1]
	s_mov_b32 s15, s6
	v_mov_b32_e32 v23, v21
	v_pk_fma_f32 v[26:27], v[40:41], 2.0, v[22:23] op_sel_hi:[1,0,1] neg_lo:[0,0,1] neg_hi:[0,0,1]
	ds_write_b96 v57, v[26:28] offset:32
	v_mov_b32_e32 v26, v29
	v_mov_b32_e32 v27, v68
	;; [unrolled: 1-line block ×4, first 2 shown]
	s_mov_b32 s11, s6
	v_pk_fma_f32 v[26:27], v[26:27], s[14:15], v[28:29]
	v_fmamk_f32 v15, v39, 0x3f3504f3, v37
	v_pk_fma_f32 v[30:31], v[66:67], s[10:11], v[26:27] neg_lo:[1,0,0] neg_hi:[1,0,0]
	v_pk_fma_f32 v[26:27], v[66:67], s[10:11], v[26:27]
	v_fmamk_f32 v42, v68, 0xbf3504f3, v15
	v_mov_b32_e32 v31, v27
	v_pk_fma_f32 v[26:27], v[28:29], 2.0, v[30:31] op_sel_hi:[1,0,1] neg_lo:[0,0,1] neg_hi:[0,0,1]
	ds_write2_b32 v57, v26, v27 offset0:11 offset1:12
	v_mov_b32_e32 v26, v37
	v_mov_b32_e32 v27, v34
	v_pk_fma_f32 v[26:27], v[26:27], 2.0, v[42:43] op_sel_hi:[1,0,1] neg_lo:[0,0,1] neg_hi:[0,0,1]
	v_mov_b32_e32 v15, v59
	ds_write2_b32 v57, v26, v27 offset0:13 offset1:14
	ds_write_b128 v57, v[12:15] offset:64
	ds_write_b128 v57, v[16:19] offset:80
	ds_write_b96 v57, v[22:24] offset:96
	ds_write2_b32 v57, v30, v31 offset0:27 offset1:28
	ds_write2_b32 v57, v42, v43 offset0:29 offset1:30
	;; [unrolled: 1-line block ×3, first 2 shown]
.LBB0_13:
	s_or_b64 exec, exec, s[4:5]
	s_waitcnt lgkmcnt(0)
	s_barrier
	ds_read2_b64 v[12:15], v56 offset1:16
	ds_read2_b64 v[16:19], v56 offset0:32 offset1:48
	ds_read2_b64 v[20:23], v56 offset0:64 offset1:80
	;; [unrolled: 1-line block ×3, first 2 shown]
	s_mov_b32 s4, 0x3f3504f3
	s_waitcnt lgkmcnt(3)
	v_pk_mul_f32 v[28:29], v[8:9], v[14:15] op_sel:[1,0]
	s_nop 0
	v_pk_fma_f32 v[30:31], v[8:9], v[14:15], v[28:29] op_sel:[0,0,1] op_sel_hi:[1,1,0]
	v_pk_fma_f32 v[8:9], v[8:9], v[14:15], v[28:29] op_sel:[0,0,1] op_sel_hi:[0,1,0] neg_lo:[0,0,1] neg_hi:[0,0,1]
	v_mov_b32_e32 v31, v9
	s_waitcnt lgkmcnt(2)
	v_pk_mul_f32 v[8:9], v[10:11], v[16:17] op_sel:[1,0]
	s_nop 0
	v_pk_fma_f32 v[14:15], v[10:11], v[16:17], v[8:9] op_sel:[0,0,1] op_sel_hi:[1,1,0]
	v_pk_fma_f32 v[8:9], v[10:11], v[16:17], v[8:9] op_sel:[0,0,1] op_sel_hi:[0,1,0] neg_lo:[0,0,1] neg_hi:[0,0,1]
	v_mov_b32_e32 v15, v9
	v_pk_mul_f32 v[8:9], v[4:5], v[18:19] op_sel:[1,0]
	s_nop 0
	v_pk_fma_f32 v[10:11], v[4:5], v[18:19], v[8:9] op_sel:[0,0,1] op_sel_hi:[1,1,0]
	v_pk_fma_f32 v[4:5], v[4:5], v[18:19], v[8:9] op_sel:[0,0,1] op_sel_hi:[0,1,0] neg_lo:[0,0,1] neg_hi:[0,0,1]
	v_mov_b32_e32 v11, v5
	s_waitcnt lgkmcnt(1)
	v_pk_mul_f32 v[4:5], v[6:7], v[20:21]
	s_nop 0
	v_pk_fma_f32 v[6:7], v[48:49], v[20:21], v[4:5] op_sel:[0,0,1] op_sel_hi:[1,1,0]
	v_pk_fma_f32 v[4:5], v[48:49], v[20:21], v[4:5] op_sel:[0,0,1] op_sel_hi:[1,1,0] neg_lo:[0,0,1] neg_hi:[0,0,1]
	s_nop 0
	v_mov_b32_e32 v7, v5
	v_pk_mul_f32 v[4:5], v[0:1], v[22:23] op_sel:[1,0]
	s_nop 0
	v_pk_fma_f32 v[8:9], v[0:1], v[22:23], v[4:5] op_sel:[0,0,1] op_sel_hi:[1,1,0]
	v_pk_fma_f32 v[0:1], v[0:1], v[22:23], v[4:5] op_sel:[0,0,1] op_sel_hi:[0,1,0] neg_lo:[0,0,1] neg_hi:[0,0,1]
	v_mov_b32_e32 v9, v1
	s_waitcnt lgkmcnt(0)
	v_pk_mul_f32 v[0:1], v[2:3], v[24:25] op_sel:[1,0]
	v_pk_add_f32 v[8:9], v[30:31], v[8:9] neg_lo:[0,1] neg_hi:[0,1]
	v_pk_fma_f32 v[4:5], v[2:3], v[24:25], v[0:1] op_sel:[0,0,1] op_sel_hi:[1,1,0]
	v_pk_fma_f32 v[0:1], v[2:3], v[24:25], v[0:1] op_sel:[0,0,1] op_sel_hi:[0,1,0] neg_lo:[0,0,1] neg_hi:[0,0,1]
	v_mov_b32_e32 v5, v1
	v_pk_mul_f32 v[0:1], v[46:47], v[26:27] op_sel:[1,0]
	v_pk_add_f32 v[4:5], v[14:15], v[4:5] neg_lo:[0,1] neg_hi:[0,1]
	v_pk_fma_f32 v[2:3], v[46:47], v[26:27], v[0:1] op_sel:[0,0,1] op_sel_hi:[1,1,0]
	v_pk_fma_f32 v[0:1], v[46:47], v[26:27], v[0:1] op_sel:[0,0,1] op_sel_hi:[0,1,0] neg_lo:[0,0,1] neg_hi:[0,0,1]
	v_mov_b32_e32 v3, v1
	v_pk_add_f32 v[0:1], v[12:13], v[6:7] neg_lo:[0,1] neg_hi:[0,1]
	v_pk_add_f32 v[2:3], v[10:11], v[2:3] neg_lo:[0,1] neg_hi:[0,1]
	v_pk_fma_f32 v[6:7], v[12:13], 2.0, v[0:1] op_sel_hi:[1,0,1] neg_lo:[0,0,1] neg_hi:[0,0,1]
	v_pk_fma_f32 v[12:13], v[14:15], 2.0, v[4:5] op_sel_hi:[1,0,1] neg_lo:[0,0,1] neg_hi:[0,0,1]
	v_pk_add_f32 v[16:17], v[0:1], v[4:5] op_sel:[0,1] op_sel_hi:[1,0]
	v_pk_add_f32 v[4:5], v[0:1], v[4:5] op_sel:[0,1] op_sel_hi:[1,0] neg_lo:[0,1] neg_hi:[0,1]
	v_pk_fma_f32 v[10:11], v[10:11], 2.0, v[2:3] op_sel_hi:[1,0,1] neg_lo:[0,0,1] neg_hi:[0,0,1]
	v_mov_b32_e32 v17, v5
	v_pk_add_f32 v[4:5], v[8:9], v[2:3] op_sel:[0,1] op_sel_hi:[1,0]
	v_pk_add_f32 v[2:3], v[8:9], v[2:3] op_sel:[0,1] op_sel_hi:[1,0] neg_lo:[0,1] neg_hi:[0,1]
	v_pk_fma_f32 v[14:15], v[30:31], 2.0, v[8:9] op_sel_hi:[1,0,1] neg_lo:[0,0,1] neg_hi:[0,0,1]
	v_mov_b32_e32 v5, v3
	v_pk_fma_f32 v[0:1], v[0:1], 2.0, v[16:17] op_sel_hi:[1,0,1] neg_lo:[0,0,1] neg_hi:[0,0,1]
	v_pk_fma_f32 v[2:3], v[8:9], 2.0, v[4:5] op_sel_hi:[1,0,1] neg_lo:[0,0,1] neg_hi:[0,0,1]
	v_pk_add_f32 v[12:13], v[6:7], v[12:13] neg_lo:[0,1] neg_hi:[0,1]
	v_pk_add_f32 v[10:11], v[14:15], v[10:11] neg_lo:[0,1] neg_hi:[0,1]
	v_pk_mul_f32 v[8:9], v[2:3], s[4:5] op_sel_hi:[1,0]
	v_pk_fma_f32 v[2:3], v[2:3], s[4:5], v[0:1] op_sel_hi:[1,0,1] neg_lo:[1,0,0] neg_hi:[1,0,0]
	v_pk_fma_f32 v[6:7], v[6:7], 2.0, v[12:13] op_sel_hi:[1,0,1] neg_lo:[0,0,1] neg_hi:[0,0,1]
	v_pk_fma_f32 v[14:15], v[14:15], 2.0, v[10:11] op_sel_hi:[1,0,1] neg_lo:[0,0,1] neg_hi:[0,0,1]
	v_pk_add_f32 v[18:19], v[2:3], v[8:9] op_sel:[0,1] op_sel_hi:[1,0]
	v_pk_add_f32 v[2:3], v[2:3], v[8:9] op_sel:[0,1] op_sel_hi:[1,0] neg_lo:[0,1] neg_hi:[0,1]
	v_pk_add_f32 v[14:15], v[6:7], v[14:15] neg_lo:[0,1] neg_hi:[0,1]
	v_mov_b32_e32 v19, v3
	v_pk_fma_f32 v[6:7], v[6:7], 2.0, v[14:15] op_sel_hi:[1,0,1] neg_lo:[0,0,1] neg_hi:[0,0,1]
	v_pk_fma_f32 v[0:1], v[0:1], 2.0, v[18:19] op_sel_hi:[1,0,1] neg_lo:[0,0,1] neg_hi:[0,0,1]
	ds_write2_b64 v56, v[6:7], v[0:1] offset1:16
	v_pk_mul_f32 v[6:7], v[4:5], s[4:5] op_sel_hi:[1,0]
	v_pk_fma_f32 v[4:5], v[4:5], s[4:5], v[16:17] op_sel_hi:[1,0,1]
	v_pk_add_f32 v[0:1], v[12:13], v[10:11] op_sel:[0,1] op_sel_hi:[1,0]
	v_pk_add_f32 v[2:3], v[12:13], v[10:11] op_sel:[0,1] op_sel_hi:[1,0] neg_lo:[0,1] neg_hi:[0,1]
	v_pk_add_f32 v[8:9], v[4:5], v[6:7] op_sel:[0,1] op_sel_hi:[1,0]
	v_pk_add_f32 v[4:5], v[4:5], v[6:7] op_sel:[0,1] op_sel_hi:[1,0] neg_lo:[0,1] neg_hi:[0,1]
	v_mov_b32_e32 v1, v3
	v_mov_b32_e32 v9, v5
	v_pk_fma_f32 v[2:3], v[12:13], 2.0, v[0:1] op_sel_hi:[1,0,1] neg_lo:[0,0,1] neg_hi:[0,0,1]
	v_pk_fma_f32 v[4:5], v[16:17], 2.0, v[8:9] op_sel_hi:[1,0,1] neg_lo:[0,0,1] neg_hi:[0,0,1]
	ds_write2_b64 v56, v[2:3], v[4:5] offset0:32 offset1:48
	ds_write2_b64 v56, v[14:15], v[18:19] offset0:64 offset1:80
	;; [unrolled: 1-line block ×3, first 2 shown]
	s_waitcnt lgkmcnt(0)
	s_barrier
	s_and_b64 exec, exec, vcc
	s_cbranch_execz .LBB0_15
; %bb.14:
	global_load_dwordx2 v[12:13], v51, s[8:9]
	global_load_dwordx2 v[14:15], v51, s[8:9] offset:64
	global_load_dwordx2 v[16:17], v51, s[8:9] offset:128
	;; [unrolled: 1-line block ×6, first 2 shown]
	ds_read_b64 v[30:31], v56
	ds_read2_b64 v[0:3], v45 offset0:8 offset1:16
	ds_read2_b64 v[4:7], v45 offset0:24 offset1:32
	;; [unrolled: 1-line block ×3, first 2 shown]
	global_load_dwordx2 v[40:41], v51, s[8:9] offset:448
	global_load_dwordx2 v[42:43], v51, s[8:9] offset:512
	;; [unrolled: 1-line block ×5, first 2 shown]
	v_mad_u64_u32 v[26:27], s[4:5], s2, v44, 0
	v_mad_u64_u32 v[28:29], s[4:5], s0, v50, 0
	v_mad_u64_u32 v[34:35], s[4:5], s0, v54, 0
	v_mov_b32_e32 v58, v27
	v_mad_u64_u32 v[36:37], s[6:7], s0, v55, 0
	v_mov_b32_e32 v60, v29
	v_mov_b32_e32 v62, v35
	v_mad_u64_u32 v[58:59], s[6:7], s3, v44, v[58:59]
	v_mov_b32_e32 v22, s12
	v_mov_b32_e32 v23, s13
	v_mov_b32_e32 v64, v37
	v_mad_u64_u32 v[60:61], s[6:7], s1, v50, v[60:61]
	v_mad_u64_u32 v[62:63], s[6:7], s1, v54, v[62:63]
	v_mov_b32_e32 v27, v58
	v_mad_u64_u32 v[54:55], s[6:7], s1, v55, v[64:65]
	v_mov_b32_e32 v29, v60
	v_mov_b32_e32 v35, v62
	v_lshl_add_u64 v[22:23], v[26:27], 3, v[22:23]
	s_brev_b32 s2, 60
	s_lshl_b64 s[4:5], s[0:1], 7
	v_mov_b32_e32 v37, v54
	v_lshl_add_u64 v[26:27], v[28:29], 3, v[22:23]
	v_lshl_add_u64 v[28:29], v[34:35], 3, v[22:23]
	;; [unrolled: 1-line block ×5, first 2 shown]
	v_mad_u64_u32 v[38:39], s[6:7], s0, v53, 0
	v_mov_b32_e32 v66, v39
	s_waitcnt vmcnt(11) lgkmcnt(3)
	v_pk_mul_f32 v[58:59], v[30:31], v[12:13] op_sel:[0,1]
	s_waitcnt vmcnt(10) lgkmcnt(2)
	v_pk_mul_f32 v[60:61], v[0:1], v[14:15] op_sel:[0,1]
	s_waitcnt vmcnt(9)
	v_pk_mul_f32 v[62:63], v[2:3], v[16:17] op_sel:[0,1]
	s_waitcnt vmcnt(8) lgkmcnt(1)
	v_pk_mul_f32 v[64:65], v[4:5], v[18:19] op_sel:[0,1]
	s_waitcnt vmcnt(7)
	v_pk_mul_f32 v[68:69], v[6:7], v[20:21] op_sel:[0,1]
	v_pk_fma_f32 v[70:71], v[12:13], v[30:31], v[58:59] op_sel:[0,0,1] op_sel_hi:[1,1,0]
	v_pk_fma_f32 v[12:13], v[12:13], v[30:31], v[58:59] op_sel:[0,0,1] op_sel_hi:[0,1,0] neg_lo:[0,0,1] neg_hi:[0,0,1]
	v_pk_fma_f32 v[30:31], v[14:15], v[0:1], v[60:61] op_sel:[0,0,1] op_sel_hi:[1,1,0]
	v_pk_fma_f32 v[0:1], v[14:15], v[0:1], v[60:61] op_sel:[0,0,1] op_sel_hi:[0,1,0] neg_lo:[0,0,1] neg_hi:[0,0,1]
	;; [unrolled: 2-line block ×5, first 2 shown]
	v_mov_b32_e32 v71, v13
	v_mov_b32_e32 v31, v1
	;; [unrolled: 1-line block ×5, first 2 shown]
	v_pk_mul_f32 v[0:1], v[70:71], s[2:3] op_sel_hi:[1,0]
	v_pk_mul_f32 v[2:3], v[30:31], s[2:3] op_sel_hi:[1,0]
	;; [unrolled: 1-line block ×5, first 2 shown]
	global_store_dwordx2 v[26:27], v[0:1], off
	global_store_dwordx2 v[28:29], v[2:3], off
	;; [unrolled: 1-line block ×5, first 2 shown]
	global_load_dwordx2 v[4:5], v51, s[8:9] offset:768
	s_waitcnt vmcnt(12) lgkmcnt(0)
	v_pk_mul_f32 v[2:3], v[8:9], v[24:25] op_sel:[0,1]
	v_mad_u64_u32 v[0:1], s[6:7], s1, v53, v[66:67]
	v_pk_fma_f32 v[6:7], v[24:25], v[8:9], v[2:3] op_sel:[0,0,1] op_sel_hi:[1,1,0]
	v_pk_fma_f32 v[2:3], v[24:25], v[8:9], v[2:3] op_sel:[0,0,1] op_sel_hi:[0,1,0] neg_lo:[0,0,1] neg_hi:[0,0,1]
	global_load_dwordx2 v[8:9], v51, s[8:9] offset:832
	global_load_dwordx2 v[14:15], v51, s[8:9] offset:896
	v_mov_b32_e32 v39, v0
	v_mov_b32_e32 v7, v3
	v_lshl_add_u64 v[0:1], v[38:39], 3, v[22:23]
	v_pk_mul_f32 v[2:3], v[6:7], s[2:3] op_sel_hi:[1,0]
	global_store_dwordx2 v[0:1], v[2:3], off
	s_waitcnt vmcnt(14)
	v_pk_mul_f32 v[0:1], v[10:11], v[32:33] op_sel:[0,1]
	v_lshl_add_u64 v[6:7], v[54:55], 0, s[4:5]
	v_pk_fma_f32 v[2:3], v[32:33], v[10:11], v[0:1] op_sel:[0,0,1] op_sel_hi:[1,1,0]
	v_pk_fma_f32 v[0:1], v[32:33], v[10:11], v[0:1] op_sel:[0,0,1] op_sel_hi:[0,1,0] neg_lo:[0,0,1] neg_hi:[0,0,1]
	v_mov_b32_e32 v3, v1
	v_pk_mul_f32 v[0:1], v[2:3], s[2:3] op_sel_hi:[1,0]
	global_store_dwordx2 v[6:7], v[0:1], off
	ds_read2_b64 v[0:3], v45 offset0:56 offset1:64
	v_mad_u64_u32 v[10:11], s[6:7], s0, v52, 0
	v_mov_b32_e32 v12, v11
	v_mad_u64_u32 v[12:13], s[6:7], s1, v52, v[12:13]
	v_mov_b32_e32 v11, v12
	s_waitcnt vmcnt(14) lgkmcnt(0)
	v_pk_mul_f32 v[12:13], v[0:1], v[40:41] op_sel:[0,1]
	v_lshl_add_u64 v[10:11], v[10:11], 3, v[22:23]
	v_pk_fma_f32 v[16:17], v[40:41], v[0:1], v[12:13] op_sel:[0,0,1] op_sel_hi:[1,1,0]
	v_pk_fma_f32 v[0:1], v[40:41], v[0:1], v[12:13] op_sel:[0,0,1] op_sel_hi:[0,1,0] neg_lo:[0,0,1] neg_hi:[0,0,1]
	global_load_dwordx2 v[12:13], v51, s[8:9] offset:960
	v_mov_b32_e32 v17, v1
	v_pk_mul_f32 v[0:1], v[16:17], s[2:3] op_sel_hi:[1,0]
	global_store_dwordx2 v[10:11], v[0:1], off
	s_waitcnt vmcnt(15)
	v_pk_mul_f32 v[0:1], v[2:3], v[42:43] op_sel:[0,1]
	v_lshl_add_u64 v[6:7], v[6:7], 0, s[4:5]
	v_pk_fma_f32 v[10:11], v[42:43], v[2:3], v[0:1] op_sel:[0,0,1] op_sel_hi:[1,1,0]
	v_pk_fma_f32 v[0:1], v[42:43], v[2:3], v[0:1] op_sel:[0,0,1] op_sel_hi:[0,1,0] neg_lo:[0,0,1] neg_hi:[0,0,1]
	v_mov_b32_e32 v11, v1
	v_pk_mul_f32 v[0:1], v[10:11], s[2:3] op_sel_hi:[1,0]
	global_store_dwordx2 v[6:7], v[0:1], off
	ds_read2_b64 v[0:3], v45 offset0:72 offset1:80
	v_or_b32_e32 v17, 0x48, v50
	v_mad_u64_u32 v[10:11], s[6:7], s0, v17, 0
	v_mov_b32_e32 v16, v11
	v_mad_u64_u32 v[16:17], s[6:7], s1, v17, v[16:17]
	v_mov_b32_e32 v11, v16
	s_waitcnt vmcnt(15) lgkmcnt(0)
	v_pk_mul_f32 v[16:17], v[0:1], v[46:47] op_sel:[0,1]
	v_lshl_add_u64 v[10:11], v[10:11], 3, v[22:23]
	v_pk_fma_f32 v[18:19], v[46:47], v[0:1], v[16:17] op_sel:[0,0,1] op_sel_hi:[1,1,0]
	v_pk_fma_f32 v[0:1], v[46:47], v[0:1], v[16:17] op_sel:[0,0,1] op_sel_hi:[0,1,0] neg_lo:[0,0,1] neg_hi:[0,0,1]
	v_mov_b32_e32 v19, v1
	v_pk_mul_f32 v[0:1], v[18:19], s[2:3] op_sel_hi:[1,0]
	global_store_dwordx2 v[10:11], v[0:1], off
	s_waitcnt vmcnt(15)
	v_pk_mul_f32 v[0:1], v[2:3], v[48:49] op_sel:[0,1]
	v_lshl_add_u64 v[6:7], v[6:7], 0, s[4:5]
	v_pk_fma_f32 v[10:11], v[48:49], v[2:3], v[0:1] op_sel:[0,0,1] op_sel_hi:[1,1,0]
	v_pk_fma_f32 v[0:1], v[48:49], v[2:3], v[0:1] op_sel:[0,0,1] op_sel_hi:[0,1,0] neg_lo:[0,0,1] neg_hi:[0,0,1]
	v_mov_b32_e32 v11, v1
	v_pk_mul_f32 v[0:1], v[10:11], s[2:3] op_sel_hi:[1,0]
	global_store_dwordx2 v[6:7], v[0:1], off
	ds_read2_b64 v[0:3], v45 offset0:88 offset1:96
	v_or_b32_e32 v17, 0x58, v50
	v_mad_u64_u32 v[10:11], s[6:7], s0, v17, 0
	v_mov_b32_e32 v16, v11
	v_mad_u64_u32 v[16:17], s[6:7], s1, v17, v[16:17]
	v_mov_b32_e32 v11, v16
	s_waitcnt vmcnt(15) lgkmcnt(0)
	v_pk_mul_f32 v[16:17], v[0:1], v[56:57] op_sel:[0,1]
	v_lshl_add_u64 v[10:11], v[10:11], 3, v[22:23]
	v_pk_fma_f32 v[18:19], v[56:57], v[0:1], v[16:17] op_sel:[0,0,1] op_sel_hi:[1,1,0]
	v_pk_fma_f32 v[0:1], v[56:57], v[0:1], v[16:17] op_sel:[0,0,1] op_sel_hi:[0,1,0] neg_lo:[0,0,1] neg_hi:[0,0,1]
	v_mov_b32_e32 v19, v1
	v_pk_mul_f32 v[0:1], v[18:19], s[2:3] op_sel_hi:[1,0]
	global_store_dwordx2 v[10:11], v[0:1], off
	v_lshl_add_u64 v[6:7], v[6:7], 0, s[4:5]
	s_waitcnt vmcnt(10)
	v_pk_mul_f32 v[0:1], v[2:3], v[4:5] op_sel:[0,1]
	s_nop 0
	v_pk_fma_f32 v[10:11], v[4:5], v[2:3], v[0:1] op_sel:[0,0,1] op_sel_hi:[1,1,0]
	v_pk_fma_f32 v[0:1], v[4:5], v[2:3], v[0:1] op_sel:[0,0,1] op_sel_hi:[0,1,0] neg_lo:[0,0,1] neg_hi:[0,0,1]
	v_mov_b32_e32 v11, v1
	v_pk_mul_f32 v[0:1], v[10:11], s[2:3] op_sel_hi:[1,0]
	global_store_dwordx2 v[6:7], v[0:1], off
	ds_read2_b64 v[0:3], v45 offset0:104 offset1:112
	v_or_b32_e32 v11, 0x68, v50
	v_mad_u64_u32 v[4:5], s[6:7], s0, v11, 0
	v_mov_b32_e32 v10, v5
	v_mad_u64_u32 v[10:11], s[6:7], s1, v11, v[10:11]
	v_mov_b32_e32 v5, v10
	s_waitcnt vmcnt(10) lgkmcnt(0)
	v_pk_mul_f32 v[10:11], v[0:1], v[8:9] op_sel:[0,1]
	v_lshl_add_u64 v[4:5], v[4:5], 3, v[22:23]
	v_pk_fma_f32 v[16:17], v[8:9], v[0:1], v[10:11] op_sel:[0,0,1] op_sel_hi:[1,1,0]
	v_pk_fma_f32 v[0:1], v[8:9], v[0:1], v[10:11] op_sel:[0,0,1] op_sel_hi:[0,1,0] neg_lo:[0,0,1] neg_hi:[0,0,1]
	v_mov_b32_e32 v17, v1
	v_pk_mul_f32 v[0:1], v[16:17], s[2:3] op_sel_hi:[1,0]
	global_store_dwordx2 v[4:5], v[0:1], off
	s_waitcnt vmcnt(10)
	v_pk_mul_f32 v[4:5], v[2:3], v[14:15] op_sel:[0,1]
	v_lshl_add_u64 v[0:1], v[6:7], 0, s[4:5]
	v_pk_fma_f32 v[6:7], v[14:15], v[2:3], v[4:5] op_sel:[0,0,1] op_sel_hi:[1,1,0]
	v_pk_fma_f32 v[2:3], v[14:15], v[2:3], v[4:5] op_sel:[0,0,1] op_sel_hi:[0,1,0] neg_lo:[0,0,1] neg_hi:[0,0,1]
	v_mov_b32_e32 v7, v3
	v_pk_mul_f32 v[2:3], v[6:7], s[2:3] op_sel_hi:[1,0]
	ds_read_b64 v[4:5], v45 offset:960
	global_store_dwordx2 v[0:1], v[2:3], off
	v_or_b32_e32 v3, 0x78, v50
	v_mad_u64_u32 v[0:1], s[4:5], s0, v3, 0
	v_mov_b32_e32 v2, v1
	v_mad_u64_u32 v[2:3], s[0:1], s1, v3, v[2:3]
	v_mov_b32_e32 v1, v2
	s_waitcnt vmcnt(8) lgkmcnt(0)
	v_pk_mul_f32 v[2:3], v[4:5], v[12:13] op_sel:[0,1]
	v_lshl_add_u64 v[0:1], v[0:1], 3, v[22:23]
	v_pk_fma_f32 v[6:7], v[12:13], v[4:5], v[2:3] op_sel:[0,0,1] op_sel_hi:[1,1,0]
	v_pk_fma_f32 v[2:3], v[12:13], v[4:5], v[2:3] op_sel:[0,0,1] op_sel_hi:[0,1,0] neg_lo:[0,0,1] neg_hi:[0,0,1]
	v_mov_b32_e32 v7, v3
	v_pk_mul_f32 v[2:3], v[6:7], s[2:3] op_sel_hi:[1,0]
	global_store_dwordx2 v[0:1], v[2:3], off
.LBB0_15:
	s_endpgm
	.section	.rodata,"a",@progbits
	.p2align	6, 0x0
	.amdhsa_kernel bluestein_single_fwd_len128_dim1_sp_op_CI_CI
		.amdhsa_group_segment_fixed_size 16384
		.amdhsa_private_segment_fixed_size 0
		.amdhsa_kernarg_size 104
		.amdhsa_user_sgpr_count 2
		.amdhsa_user_sgpr_dispatch_ptr 0
		.amdhsa_user_sgpr_queue_ptr 0
		.amdhsa_user_sgpr_kernarg_segment_ptr 1
		.amdhsa_user_sgpr_dispatch_id 0
		.amdhsa_user_sgpr_kernarg_preload_length 0
		.amdhsa_user_sgpr_kernarg_preload_offset 0
		.amdhsa_user_sgpr_private_segment_size 0
		.amdhsa_uses_dynamic_stack 0
		.amdhsa_enable_private_segment 0
		.amdhsa_system_sgpr_workgroup_id_x 1
		.amdhsa_system_sgpr_workgroup_id_y 0
		.amdhsa_system_sgpr_workgroup_id_z 0
		.amdhsa_system_sgpr_workgroup_info 0
		.amdhsa_system_vgpr_workitem_id 0
		.amdhsa_next_free_vgpr 126
		.amdhsa_next_free_sgpr 16
		.amdhsa_accum_offset 128
		.amdhsa_reserve_vcc 1
		.amdhsa_float_round_mode_32 0
		.amdhsa_float_round_mode_16_64 0
		.amdhsa_float_denorm_mode_32 3
		.amdhsa_float_denorm_mode_16_64 3
		.amdhsa_dx10_clamp 1
		.amdhsa_ieee_mode 1
		.amdhsa_fp16_overflow 0
		.amdhsa_tg_split 0
		.amdhsa_exception_fp_ieee_invalid_op 0
		.amdhsa_exception_fp_denorm_src 0
		.amdhsa_exception_fp_ieee_div_zero 0
		.amdhsa_exception_fp_ieee_overflow 0
		.amdhsa_exception_fp_ieee_underflow 0
		.amdhsa_exception_fp_ieee_inexact 0
		.amdhsa_exception_int_div_zero 0
	.end_amdhsa_kernel
	.text
.Lfunc_end0:
	.size	bluestein_single_fwd_len128_dim1_sp_op_CI_CI, .Lfunc_end0-bluestein_single_fwd_len128_dim1_sp_op_CI_CI
                                        ; -- End function
	.section	.AMDGPU.csdata,"",@progbits
; Kernel info:
; codeLenInByte = 7184
; NumSgprs: 22
; NumVgprs: 126
; NumAgprs: 0
; TotalNumVgprs: 126
; ScratchSize: 0
; MemoryBound: 0
; FloatMode: 240
; IeeeMode: 1
; LDSByteSize: 16384 bytes/workgroup (compile time only)
; SGPRBlocks: 2
; VGPRBlocks: 15
; NumSGPRsForWavesPerEU: 22
; NumVGPRsForWavesPerEU: 126
; AccumOffset: 128
; Occupancy: 4
; WaveLimiterHint : 1
; COMPUTE_PGM_RSRC2:SCRATCH_EN: 0
; COMPUTE_PGM_RSRC2:USER_SGPR: 2
; COMPUTE_PGM_RSRC2:TRAP_HANDLER: 0
; COMPUTE_PGM_RSRC2:TGID_X_EN: 1
; COMPUTE_PGM_RSRC2:TGID_Y_EN: 0
; COMPUTE_PGM_RSRC2:TGID_Z_EN: 0
; COMPUTE_PGM_RSRC2:TIDIG_COMP_CNT: 0
; COMPUTE_PGM_RSRC3_GFX90A:ACCUM_OFFSET: 31
; COMPUTE_PGM_RSRC3_GFX90A:TG_SPLIT: 0
	.text
	.p2alignl 6, 3212836864
	.fill 256, 4, 3212836864
	.type	__hip_cuid_d05ac15b54509dc,@object ; @__hip_cuid_d05ac15b54509dc
	.section	.bss,"aw",@nobits
	.globl	__hip_cuid_d05ac15b54509dc
__hip_cuid_d05ac15b54509dc:
	.byte	0                               ; 0x0
	.size	__hip_cuid_d05ac15b54509dc, 1

	.ident	"AMD clang version 19.0.0git (https://github.com/RadeonOpenCompute/llvm-project roc-6.4.0 25133 c7fe45cf4b819c5991fe208aaa96edf142730f1d)"
	.section	".note.GNU-stack","",@progbits
	.addrsig
	.addrsig_sym __hip_cuid_d05ac15b54509dc
	.amdgpu_metadata
---
amdhsa.kernels:
  - .agpr_count:     0
    .args:
      - .actual_access:  read_only
        .address_space:  global
        .offset:         0
        .size:           8
        .value_kind:     global_buffer
      - .actual_access:  read_only
        .address_space:  global
        .offset:         8
        .size:           8
        .value_kind:     global_buffer
      - .actual_access:  read_only
        .address_space:  global
        .offset:         16
        .size:           8
        .value_kind:     global_buffer
      - .actual_access:  read_only
        .address_space:  global
        .offset:         24
        .size:           8
        .value_kind:     global_buffer
      - .actual_access:  read_only
        .address_space:  global
        .offset:         32
        .size:           8
        .value_kind:     global_buffer
      - .offset:         40
        .size:           8
        .value_kind:     by_value
      - .address_space:  global
        .offset:         48
        .size:           8
        .value_kind:     global_buffer
      - .address_space:  global
        .offset:         56
        .size:           8
        .value_kind:     global_buffer
      - .address_space:  global
        .offset:         64
        .size:           8
        .value_kind:     global_buffer
      - .address_space:  global
        .offset:         72
        .size:           8
        .value_kind:     global_buffer
      - .offset:         80
        .size:           4
        .value_kind:     by_value
      - .address_space:  global
        .offset:         88
        .size:           8
        .value_kind:     global_buffer
      - .address_space:  global
        .offset:         96
        .size:           8
        .value_kind:     global_buffer
    .group_segment_fixed_size: 16384
    .kernarg_segment_align: 8
    .kernarg_segment_size: 104
    .language:       OpenCL C
    .language_version:
      - 2
      - 0
    .max_flat_workgroup_size: 256
    .name:           bluestein_single_fwd_len128_dim1_sp_op_CI_CI
    .private_segment_fixed_size: 0
    .sgpr_count:     22
    .sgpr_spill_count: 0
    .symbol:         bluestein_single_fwd_len128_dim1_sp_op_CI_CI.kd
    .uniform_work_group_size: 1
    .uses_dynamic_stack: false
    .vgpr_count:     126
    .vgpr_spill_count: 0
    .wavefront_size: 64
amdhsa.target:   amdgcn-amd-amdhsa--gfx950
amdhsa.version:
  - 1
  - 2
...

	.end_amdgpu_metadata
